;; amdgpu-corpus repo=ROCm/bitsandbytes kind=harvested arch=n/a opt=n/a
	.text
	.amdgcn_target "amdgcn-amd-amdhsa--gfx942"
	.amdhsa_code_object_version 6
	.protected	_Z5kfuncIfLi1EEvPT_S1_S0_l ; -- Begin function _Z5kfuncIfLi1EEvPT_S1_S0_l
	.globl	_Z5kfuncIfLi1EEvPT_S1_S0_l
	.p2align	8
	.type	_Z5kfuncIfLi1EEvPT_S1_S0_l,@function
_Z5kfuncIfLi1EEvPT_S1_S0_l:             ; @_Z5kfuncIfLi1EEvPT_S1_S0_l
; %bb.0:
	s_load_dword s3, s[0:1], 0x2c
	s_load_dwordx2 s[4:5], s[0:1], 0x18
	s_add_u32 s6, s0, 32
	s_addc_u32 s7, s1, 0
	v_mov_b32_e32 v1, 0
	s_waitcnt lgkmcnt(0)
	s_and_b32 s3, s3, 0xffff
	s_mul_i32 s2, s2, s3
	v_add_u32_e32 v0, s2, v0
	v_cmp_gt_i64_e32 vcc, s[4:5], v[0:1]
	s_and_saveexec_b64 s[8:9], vcc
	s_cbranch_execz .LBB8_14
; %bb.1:
	s_load_dword s2, s[6:7], 0x0
	s_mov_b32 s7, 0
	v_mov_b32_e32 v2, s5
	v_mov_b32_e32 v3, s4
	s_waitcnt lgkmcnt(0)
	s_mul_i32 s6, s2, s3
	v_lshl_add_u64 v[4:5], s[6:7], 0, v[0:1]
	v_cmp_gt_i64_e32 vcc, s[4:5], v[4:5]
	s_nop 1
	v_cndmask_b32_e32 v6, v5, v2, vcc
	v_cndmask_b32_e32 v7, v4, v3, vcc
	v_cndmask_b32_e64 v2, 0, 1, vcc
	v_mov_b32_e32 v3, s7
	v_lshl_add_u64 v[4:5], v[4:5], 0, v[2:3]
	v_sub_co_u32_e32 v8, vcc, v7, v4
	v_mov_b32_e32 v4, v1
	s_nop 0
	v_subb_co_u32_e32 v5, vcc, v6, v5, vcc
	v_cmp_ne_u64_e32 vcc, 0, v[4:5]
                                        ; implicit-def: $vgpr6_vgpr7
	s_and_saveexec_b64 s[2:3], vcc
	s_xor_b64 s[8:9], exec, s[2:3]
	s_cbranch_execz .LBB8_3
; %bb.2:
	v_cvt_f32_u32_e32 v4, s6
	v_mov_b32_e32 v6, 0x4f800000
	s_sub_u32 s2, 0, s6
	s_subb_u32 s3, 0, 0
	v_fmac_f32_e32 v4, 0, v6
	v_rcp_f32_e32 v4, v4
	s_nop 0
	v_mul_f32_e32 v4, 0x5f7ffffc, v4
	v_mul_f32_e32 v6, 0x2f800000, v4
	v_trunc_f32_e32 v6, v6
	v_fmamk_f32 v4, v6, 0xcf800000, v4
	v_cvt_u32_f32_e32 v9, v6
	v_cvt_u32_f32_e32 v4, v4
	v_mul_lo_u32 v6, s2, v9
	v_mul_hi_u32 v10, s2, v4
	v_mul_lo_u32 v7, s3, v4
	v_add_u32_e32 v10, v10, v6
	v_mul_lo_u32 v12, s2, v4
	v_add_u32_e32 v13, v10, v7
	v_mul_hi_u32 v6, v4, v12
	v_mul_hi_u32 v11, v4, v13
	v_mul_lo_u32 v10, v4, v13
	v_mov_b32_e32 v7, 0
	v_lshl_add_u64 v[10:11], v[6:7], 0, v[10:11]
	v_mul_hi_u32 v6, v9, v12
	v_mul_lo_u32 v12, v9, v12
	v_add_co_u32_e32 v10, vcc, v10, v12
	v_mul_hi_u32 v14, v9, v13
	s_nop 0
	v_addc_co_u32_e32 v6, vcc, v11, v6, vcc
	v_mul_lo_u32 v10, v9, v13
	s_nop 0
	v_addc_co_u32_e32 v11, vcc, 0, v14, vcc
	v_lshl_add_u64 v[10:11], v[6:7], 0, v[10:11]
	v_add_co_u32_e32 v4, vcc, v4, v10
	v_mul_hi_u32 v10, s2, v4
	s_nop 0
	v_addc_co_u32_e32 v9, vcc, v9, v11, vcc
	v_mul_lo_u32 v6, s2, v9
	v_add_u32_e32 v6, v10, v6
	v_mul_lo_u32 v10, s3, v4
	v_add_u32_e32 v12, v6, v10
	v_mul_lo_u32 v6, s2, v4
	v_mul_hi_u32 v14, v9, v6
	v_mul_lo_u32 v15, v9, v6
	v_mul_hi_u32 v11, v4, v12
	;; [unrolled: 2-line block ×3, first 2 shown]
	v_lshl_add_u64 v[10:11], v[6:7], 0, v[10:11]
	v_add_co_u32_e32 v6, vcc, v10, v15
	v_mul_hi_u32 v13, v9, v12
	s_nop 0
	v_addc_co_u32_e32 v6, vcc, v11, v14, vcc
	v_mul_lo_u32 v10, v9, v12
	s_nop 0
	v_addc_co_u32_e32 v11, vcc, 0, v13, vcc
	v_lshl_add_u64 v[10:11], v[6:7], 0, v[10:11]
	v_add_co_u32_e32 v4, vcc, v4, v10
	v_mul_hi_u32 v6, v8, v4
	s_nop 0
	v_addc_co_u32_e32 v9, vcc, v9, v11, vcc
	v_mad_u64_u32 v[10:11], s[2:3], v8, v9, 0
	v_lshl_add_u64 v[10:11], v[6:7], 0, v[10:11]
	v_mad_u64_u32 v[14:15], s[2:3], v5, v4, 0
	v_add_co_u32_e32 v4, vcc, v10, v14
	v_mad_u64_u32 v[12:13], s[2:3], v5, v9, 0
	s_nop 0
	v_addc_co_u32_e32 v6, vcc, v11, v15, vcc
	s_nop 1
	v_addc_co_u32_e32 v13, vcc, 0, v13, vcc
	v_lshl_add_u64 v[6:7], v[6:7], 0, v[12:13]
	v_mad_u64_u32 v[10:11], s[2:3], s6, v6, 0
	v_mov_b32_e32 v4, v11
	v_mad_u64_u32 v[12:13], s[2:3], s6, v7, v[4:5]
	v_sub_co_u32_e32 v10, vcc, v8, v10
	v_lshl_add_u64 v[8:9], v[6:7], 0, 1
	s_nop 0
	v_subb_co_u32_e32 v11, vcc, v5, v12, vcc
	v_subrev_co_u32_e32 v4, vcc, s6, v10
	v_cmp_le_u32_e64 s[2:3], s6, v10
	s_nop 0
	v_subbrev_co_u32_e32 v5, vcc, 0, v11, vcc
	v_cmp_le_u32_e32 vcc, s6, v4
	s_nop 1
	v_cndmask_b32_e64 v4, 0, -1, vcc
	v_cmp_eq_u32_e32 vcc, 0, v5
	s_nop 1
	v_cndmask_b32_e32 v12, -1, v4, vcc
	v_lshl_add_u64 v[4:5], v[6:7], 0, 2
	v_cmp_ne_u32_e32 vcc, 0, v12
	s_nop 1
	v_cndmask_b32_e32 v5, v9, v5, vcc
	v_cndmask_b32_e64 v9, 0, -1, s[2:3]
	v_cmp_eq_u32_e64 s[2:3], 0, v11
	v_cndmask_b32_e32 v4, v8, v4, vcc
                                        ; implicit-def: $vgpr8
	s_nop 0
	v_cndmask_b32_e64 v9, -1, v9, s[2:3]
	v_cmp_ne_u32_e64 s[2:3], 0, v9
	s_nop 1
	v_cndmask_b32_e64 v7, v7, v5, s[2:3]
	v_cndmask_b32_e64 v6, v6, v4, s[2:3]
.LBB8_3:
	s_andn2_saveexec_b64 s[2:3], s[8:9]
	s_cbranch_execz .LBB8_5
; %bb.4:
	v_cvt_f32_u32_e32 v4, s6
	s_sub_i32 s8, 0, s6
	v_rcp_iflag_f32_e32 v4, v4
	s_nop 0
	v_mul_f32_e32 v4, 0x4f7ffffe, v4
	v_cvt_u32_f32_e32 v4, v4
	v_mul_lo_u32 v5, s8, v4
	v_mul_hi_u32 v5, v4, v5
	v_add_u32_e32 v4, v4, v5
	v_mul_hi_u32 v4, v8, v4
	v_mul_lo_u32 v5, v4, s6
	v_sub_u32_e32 v5, v8, v5
	v_add_u32_e32 v6, 1, v4
	v_subrev_u32_e32 v7, s6, v5
	v_cmp_le_u32_e32 vcc, s6, v5
	s_nop 1
	v_cndmask_b32_e32 v5, v5, v7, vcc
	v_cndmask_b32_e32 v4, v4, v6, vcc
	v_add_u32_e32 v6, 1, v4
	v_cmp_le_u32_e32 vcc, s6, v5
	v_mov_b32_e32 v7, 0
	s_nop 0
	v_cndmask_b32_e32 v6, v4, v6, vcc
.LBB8_5:
	s_or_b64 exec, exec, s[2:3]
	s_load_dwordx2 s[0:1], s[0:1], 0x0
	v_lshl_add_u64 v[2:3], v[6:7], 0, v[2:3]
	v_lshl_add_u64 v[6:7], v[2:3], 0, 1
	v_cmp_lt_u64_e32 vcc, 1, v[6:7]
	s_mov_b64 s[10:11], 0
                                        ; implicit-def: $sgpr8_sgpr9
	s_and_saveexec_b64 s[2:3], vcc
	s_xor_b64 s[2:3], exec, s[2:3]
	s_cbranch_execnz .LBB8_8
; %bb.6:
	s_or_saveexec_b64 s[2:3], s[2:3]
	v_mov_b64_e32 v[2:3], s[8:9]
	s_xor_b64 exec, exec, s[2:3]
	s_cbranch_execnz .LBB8_11
.LBB8_7:
	s_or_b64 exec, exec, s[2:3]
	s_and_b64 exec, exec, s[10:11]
	s_cbranch_execnz .LBB8_12
	s_branch .LBB8_14
.LBB8_8:
	v_lshl_add_u64 v[2:3], v[0:1], 0, s[6:7]
	v_and_b32_e32 v8, -2, v6
	v_mov_b32_e32 v9, v7
	s_lshl_b64 s[10:11], s[6:7], 1
	v_mov_b64_e32 v[4:5], v[2:3]
	s_mov_b32 s12, s10
	s_mov_b32 s13, s11
	s_lshl_b64 s[8:9], s[6:7], 2
	s_waitcnt lgkmcnt(0)
	v_lshl_add_u64 v[10:11], v[0:1], 2, s[0:1]
	s_lshl_b64 s[16:17], s[6:7], 3
	s_mov_b64 s[14:15], 0
	v_mov_b64_e32 v[12:13], v[8:9]
	v_mov_b64_e32 v[2:3], v[0:1]
.LBB8_9:                                ; =>This Inner Loop Header: Depth=1
	v_ffbh_u32_e32 v16, v5
	v_ffbh_u32_e32 v17, v3
	v_min_u32_e32 v18, 32, v16
	v_min_u32_e32 v20, 32, v17
	v_lshlrev_b64 v[16:17], v18, v[4:5]
	v_sub_u32_e32 v21, 32, v18
	v_lshlrev_b64 v[18:19], v20, v[2:3]
	v_min_u32_e32 v16, 1, v16
	v_min_u32_e32 v18, 1, v18
	v_or_b32_e32 v16, v17, v16
	v_or_b32_e32 v17, v19, v18
	v_cvt_f32_u32_e32 v17, v17
	v_cvt_f32_u32_e32 v16, v16
	v_lshl_add_u64 v[12:13], v[12:13], 0, -2
	v_sub_u32_e32 v20, 32, v20
	v_cmp_eq_u64_e32 vcc, 0, v[12:13]
	v_ldexp_f32 v17, v17, v20
	v_lshl_add_u64 v[14:15], v[10:11], 0, s[8:9]
	v_lshl_add_u64 v[4:5], v[4:5], 0, s[12:13]
	;; [unrolled: 1-line block ×3, first 2 shown]
	s_or_b64 s[14:15], vcc, s[14:15]
	v_ldexp_f32 v16, v16, v21
	global_store_dword v[10:11], v17, off
	global_store_dword v[14:15], v16, off
	v_lshl_add_u64 v[10:11], v[10:11], 0, s[16:17]
	s_andn2_b64 exec, exec, s[14:15]
	s_cbranch_execnz .LBB8_9
; %bb.10:
	s_or_b64 exec, exec, s[14:15]
	v_mad_u64_u32 v[0:1], s[10:11], v8, s6, v[0:1]
	v_mov_b32_e32 v2, v1
	v_mad_u64_u32 v[2:3], s[10:11], v9, s6, v[2:3]
	v_cmp_ne_u64_e32 vcc, v[6:7], v[8:9]
	v_mov_b32_e32 v1, v2
	s_and_b64 s[10:11], vcc, exec
	s_or_saveexec_b64 s[2:3], s[2:3]
	v_mov_b64_e32 v[2:3], s[8:9]
	s_xor_b64 exec, exec, s[2:3]
	s_cbranch_execz .LBB8_7
.LBB8_11:
	s_lshl_b64 s[8:9], s[6:7], 2
	v_mov_b64_e32 v[2:3], s[8:9]
	s_or_b64 s[10:11], s[10:11], exec
	s_or_b64 exec, exec, s[2:3]
	s_and_b64 exec, exec, s[10:11]
	s_cbranch_execz .LBB8_14
.LBB8_12:
	s_waitcnt lgkmcnt(0)
	v_lshl_add_u64 v[4:5], v[0:1], 2, s[0:1]
	s_mov_b64 s[0:1], 0
.LBB8_13:                               ; =>This Inner Loop Header: Depth=1
	v_ffbh_u32_e32 v6, v1
	v_min_u32_e32 v8, 32, v6
	v_lshlrev_b64 v[6:7], v8, v[0:1]
	v_min_u32_e32 v6, 1, v6
	v_or_b32_e32 v6, v7, v6
	v_cvt_f32_u32_e32 v6, v6
	v_sub_u32_e32 v8, 32, v8
	v_lshl_add_u64 v[0:1], v[0:1], 0, s[6:7]
	v_cmp_le_i64_e32 vcc, s[4:5], v[0:1]
	v_ldexp_f32 v6, v6, v8
	s_or_b64 s[0:1], vcc, s[0:1]
	global_store_dword v[4:5], v6, off
	v_lshl_add_u64 v[4:5], v[4:5], 0, v[2:3]
	s_andn2_b64 exec, exec, s[0:1]
	s_cbranch_execnz .LBB8_13
.LBB8_14:
	s_endpgm
	.section	.rodata,"a",@progbits
	.p2align	6, 0x0
	.amdhsa_kernel _Z5kfuncIfLi1EEvPT_S1_S0_l
		.amdhsa_group_segment_fixed_size 0
		.amdhsa_private_segment_fixed_size 0
		.amdhsa_kernarg_size 288
		.amdhsa_user_sgpr_count 2
		.amdhsa_user_sgpr_dispatch_ptr 0
		.amdhsa_user_sgpr_queue_ptr 0
		.amdhsa_user_sgpr_kernarg_segment_ptr 1
		.amdhsa_user_sgpr_dispatch_id 0
		.amdhsa_user_sgpr_kernarg_preload_length 0
		.amdhsa_user_sgpr_kernarg_preload_offset 0
		.amdhsa_user_sgpr_private_segment_size 0
		.amdhsa_uses_dynamic_stack 0
		.amdhsa_enable_private_segment 0
		.amdhsa_system_sgpr_workgroup_id_x 1
		.amdhsa_system_sgpr_workgroup_id_y 0
		.amdhsa_system_sgpr_workgroup_id_z 0
		.amdhsa_system_sgpr_workgroup_info 0
		.amdhsa_system_vgpr_workitem_id 0
		.amdhsa_next_free_vgpr 22
		.amdhsa_next_free_sgpr 18
		.amdhsa_accum_offset 24
		.amdhsa_reserve_vcc 1
		.amdhsa_float_round_mode_32 0
		.amdhsa_float_round_mode_16_64 0
		.amdhsa_float_denorm_mode_32 3
		.amdhsa_float_denorm_mode_16_64 3
		.amdhsa_dx10_clamp 1
		.amdhsa_ieee_mode 1
		.amdhsa_fp16_overflow 0
		.amdhsa_tg_split 0
		.amdhsa_exception_fp_ieee_invalid_op 0
		.amdhsa_exception_fp_denorm_src 0
		.amdhsa_exception_fp_ieee_div_zero 0
		.amdhsa_exception_fp_ieee_overflow 0
		.amdhsa_exception_fp_ieee_underflow 0
		.amdhsa_exception_fp_ieee_inexact 0
		.amdhsa_exception_int_div_zero 0
	.end_amdhsa_kernel
	.section	.text._Z5kfuncIfLi1EEvPT_S1_S0_l,"axG",@progbits,_Z5kfuncIfLi1EEvPT_S1_S0_l,comdat
.Lfunc_end8:
	.size	_Z5kfuncIfLi1EEvPT_S1_S0_l, .Lfunc_end8-_Z5kfuncIfLi1EEvPT_S1_S0_l
                                        ; -- End function
	.section	.AMDGPU.csdata,"",@progbits
; Kernel info:
; codeLenInByte = 1352
; NumSgprs: 24
; NumVgprs: 22
; NumAgprs: 0
; TotalNumVgprs: 22
; ScratchSize: 0
; MemoryBound: 0
; FloatMode: 240
; IeeeMode: 1
; LDSByteSize: 0 bytes/workgroup (compile time only)
; SGPRBlocks: 2
; VGPRBlocks: 2
; NumSGPRsForWavesPerEU: 24
; NumVGPRsForWavesPerEU: 22
; AccumOffset: 24
; Occupancy: 8
; WaveLimiterHint : 0
; COMPUTE_PGM_RSRC2:SCRATCH_EN: 0
; COMPUTE_PGM_RSRC2:USER_SGPR: 2
; COMPUTE_PGM_RSRC2:TRAP_HANDLER: 0
; COMPUTE_PGM_RSRC2:TGID_X_EN: 1
; COMPUTE_PGM_RSRC2:TGID_Y_EN: 0
; COMPUTE_PGM_RSRC2:TGID_Z_EN: 0
; COMPUTE_PGM_RSRC2:TIDIG_COMP_CNT: 0
; COMPUTE_PGM_RSRC3_GFX90A:ACCUM_OFFSET: 5
; COMPUTE_PGM_RSRC3_GFX90A:TG_SPLIT: 0
	.section	.text._Z5kfuncIfLi2EEvPT_S1_S0_l,"axG",@progbits,_Z5kfuncIfLi2EEvPT_S1_S0_l,comdat
